;; amdgpu-corpus repo=ROCm/rocm-examples kind=compiled arch=gfx1201 opt=O3
	.amdgcn_target "amdgcn-amd-amdhsa--gfx1201"
	.amdhsa_code_object_version 6
	.text
	.protected	_Z6conv2dPhS_Pfiiiii    ; -- Begin function _Z6conv2dPhS_Pfiiiii
	.globl	_Z6conv2dPhS_Pfiiiii
	.p2align	8
	.type	_Z6conv2dPhS_Pfiiiii,@function
_Z6conv2dPhS_Pfiiiii:                   ; @_Z6conv2dPhS_Pfiiiii
; %bb.0:
	s_clause 0x1
	s_load_b32 s2, s[0:1], 0x3c
	s_load_b128 s[4:7], s[0:1], 0x18
	v_and_b32_e32 v3, 0x3ff, v0
	v_bfe_u32 v0, v0, 10, 10
	s_wait_kmcnt 0x0
	s_and_b32 s3, s2, 0xffff
	s_lshr_b32 s2, s2, 16
	s_mul_i32 s8, ttmp9, s3
	v_mad_co_u64_u32 v[1:2], null, ttmp7, s2, v[0:1]
	v_add_nc_u32_e32 v2, s8, v3
	s_mov_b32 s3, 0
	s_delay_alu instid0(VALU_DEP_1) | instskip(NEXT) | instid1(VALU_DEP_3)
	v_cmp_gt_i32_e32 vcc_lo, s4, v2
	v_cmp_gt_i32_e64 s2, s5, v1
	s_and_b32 s2, vcc_lo, s2
	s_cmp_gt_i32 s6, 0
	s_cselect_b32 s9, -1, 0
	s_wait_alu 0xfffe
	s_and_b32 s2, s2, s9
	s_wait_alu 0xfffe
	s_and_saveexec_b32 s9, s2
	s_cbranch_execz .LBB0_12
; %bb.1:
	s_load_b32 s14, s[0:1], 0x28
	s_mov_b32 s17, 0
	s_wait_kmcnt 0x0
	s_cmp_gt_i32 s14, 0
	s_cselect_b32 s15, -1, 0
	s_cmp_gt_i32 s7, 0
	s_cselect_b32 s16, -1, 0
	s_lshr_b32 s2, s7, 31
	s_lshr_b32 s9, s14, 31
	s_wait_alu 0xfffe
	s_add_co_i32 s2, s7, s2
	s_add_co_i32 s9, s14, s9
	s_wait_alu 0xfffe
	s_ashr_i32 s2, s2, 1
	s_wait_alu 0xfffe
	v_subrev_nc_u32_e32 v0, s2, v3
	s_ashr_i32 s2, s9, 1
	s_wait_alu 0xfffe
	v_subrev_nc_u32_e32 v3, s2, v1
	s_delay_alu instid0(VALU_DEP_2)
	v_add_nc_u32_e32 v0, s8, v0
	s_clause 0x1
	s_load_b128 s[8:11], s[0:1], 0x0
	s_load_b64 s[12:13], s[0:1], 0x10
	s_mul_i32 s1, s6, s4
	v_mad_co_u64_u32 v[1:2], null, v1, s4, v[2:3]
	s_delay_alu instid0(VALU_DEP_1) | instskip(SKIP_1) | instid1(VALU_DEP_2)
	v_mad_co_u64_u32 v[4:5], null, s4, v3, v[0:1]
	v_mul_lo_u32 v1, v1, s6
	v_mul_lo_u32 v2, s6, v4
	v_mov_b32_e32 v4, 0
	s_branch .LBB0_4
.LBB0_2:                                ;   in Loop: Header=BB0_4 Depth=1
	v_mul_f32_e32 v5, 0x437f0000, v5
	s_delay_alu instid0(VALU_DEP_1)
	v_cvt_i32_f32_e32 v5, v5
.LBB0_3:                                ;   in Loop: Header=BB0_4 Depth=1
	v_add_nc_u32_e32 v6, s17, v1
	v_add_nc_u32_e32 v2, 1, v2
	s_add_co_i32 s17, s17, 1
	s_wait_alu 0xfffe
	s_cmp_eq_u32 s17, s6
	v_ashrrev_i32_e32 v7, 31, v6
	s_wait_kmcnt 0x0
	v_add_co_u32 v6, vcc_lo, s10, v6
	s_wait_alu 0xfffd
	s_delay_alu instid0(VALU_DEP_2)
	v_add_co_ci_u32_e64 v7, null, s11, v7, vcc_lo
	global_store_b8 v[6:7], v5, off
	s_cbranch_scc1 .LBB0_12
.LBB0_4:                                ; =>This Loop Header: Depth=1
                                        ;     Child Loop BB0_7 Depth 2
                                        ;       Child Loop BB0_10 Depth 3
	v_mov_b32_e32 v5, 0
	s_and_not1_b32 vcc_lo, exec_lo, s15
	s_wait_alu 0xfffe
	s_cbranch_vccnz .LBB0_3
; %bb.5:                                ;   in Loop: Header=BB0_4 Depth=1
	s_delay_alu instid0(VALU_DEP_3)
	v_dual_mov_b32 v5, 0 :: v_dual_mov_b32 v6, v2
	s_mov_b32 s18, 0
	s_mov_b32 s19, 0
	s_branch .LBB0_7
.LBB0_6:                                ;   in Loop: Header=BB0_7 Depth=2
	v_add_nc_u32_e32 v6, s1, v6
	s_add_co_i32 s19, s19, 1
	s_add_co_i32 s18, s18, s7
	s_wait_alu 0xfffe
	s_cmp_eq_u32 s19, s14
	s_cbranch_scc1 .LBB0_2
.LBB0_7:                                ;   Parent Loop BB0_4 Depth=1
                                        ; =>  This Loop Header: Depth=2
                                        ;       Child Loop BB0_10 Depth 3
	s_and_not1_b32 vcc_lo, exec_lo, s16
	s_wait_alu 0xfffe
	s_cbranch_vccnz .LBB0_6
; %bb.8:                                ;   in Loop: Header=BB0_7 Depth=2
	v_dual_mov_b32 v8, v6 :: v_dual_add_nc_u32 v7, s19, v3
	s_mov_b32 s20, s7
	s_mov_b32 s2, s18
	s_delay_alu instid0(VALU_DEP_1)
	v_cmp_lt_i32_e32 vcc_lo, -1, v7
	v_cmp_gt_i32_e64 s0, s5, v7
	v_mov_b32_e32 v7, v0
	s_and_b32 s21, vcc_lo, s0
	s_branch .LBB0_10
.LBB0_9:                                ;   in Loop: Header=BB0_10 Depth=3
	s_wait_alu 0xfffe
	s_or_b32 exec_lo, exec_lo, s0
	v_add_nc_u32_e32 v8, s6, v8
	v_add_nc_u32_e32 v7, 1, v7
	s_add_co_i32 s20, s20, -1
	s_add_co_i32 s2, s2, 1
	s_cmp_eq_u32 s20, 0
	s_cbranch_scc1 .LBB0_6
.LBB0_10:                               ;   Parent Loop BB0_4 Depth=1
                                        ;     Parent Loop BB0_7 Depth=2
                                        ; =>    This Inner Loop Header: Depth=3
	s_delay_alu instid0(VALU_DEP_1) | instskip(SKIP_2) | instid1(SALU_CYCLE_1)
	v_cmp_gt_i32_e32 vcc_lo, s4, v7
	v_cmp_lt_i32_e64 s0, -1, v7
	s_and_b32 s22, vcc_lo, s21
	s_and_b32 s22, s0, s22
	s_delay_alu instid0(SALU_CYCLE_1)
	s_and_saveexec_b32 s0, s22
	s_cbranch_execz .LBB0_9
; %bb.11:                               ;   in Loop: Header=BB0_10 Depth=3
	v_ashrrev_i32_e32 v10, 31, v8
	s_wait_kmcnt 0x0
	v_add_co_u32 v9, vcc_lo, s8, v8
	s_wait_alu 0xfffe
	s_lshl_b64 s[22:23], s[2:3], 2
	s_delay_alu instid0(SALU_CYCLE_1)
	s_add_nc_u64 s[22:23], s[12:13], s[22:23]
	s_wait_alu 0xfffd
	v_add_co_ci_u32_e64 v10, null, s9, v10, vcc_lo
	global_load_u8 v9, v[9:10], off
	global_load_b32 v10, v4, s[22:23]
	s_wait_loadcnt 0x1
	v_cvt_f32_ubyte0_e32 v9, v9
	s_delay_alu instid0(VALU_DEP_1) | instskip(NEXT) | instid1(VALU_DEP_1)
	v_div_scale_f32 v11, null, 0x437f0000, 0x437f0000, v9
	v_rcp_f32_e32 v12, v11
	s_delay_alu instid0(TRANS32_DEP_1) | instskip(NEXT) | instid1(VALU_DEP_1)
	v_fma_f32 v13, -v11, v12, 1.0
	v_fmac_f32_e32 v12, v13, v12
	v_div_scale_f32 v13, vcc_lo, v9, 0x437f0000, v9
	s_delay_alu instid0(VALU_DEP_1) | instskip(NEXT) | instid1(VALU_DEP_1)
	v_mul_f32_e32 v14, v13, v12
	v_fma_f32 v15, -v11, v14, v13
	s_delay_alu instid0(VALU_DEP_1) | instskip(NEXT) | instid1(VALU_DEP_1)
	v_fmac_f32_e32 v14, v15, v12
	v_fma_f32 v11, -v11, v14, v13
	s_wait_alu 0xfffd
	s_delay_alu instid0(VALU_DEP_1) | instskip(NEXT) | instid1(VALU_DEP_1)
	v_div_fmas_f32 v11, v11, v12, v14
	v_div_fixup_f32 v9, v11, 0x437f0000, v9
	s_wait_loadcnt 0x0
	s_delay_alu instid0(VALU_DEP_1)
	v_fmac_f32_e32 v5, v10, v9
	s_branch .LBB0_9
.LBB0_12:
	s_endpgm
	.section	.rodata,"a",@progbits
	.p2align	6, 0x0
	.amdhsa_kernel _Z6conv2dPhS_Pfiiiii
		.amdhsa_group_segment_fixed_size 0
		.amdhsa_private_segment_fixed_size 0
		.amdhsa_kernarg_size 304
		.amdhsa_user_sgpr_count 2
		.amdhsa_user_sgpr_dispatch_ptr 0
		.amdhsa_user_sgpr_queue_ptr 0
		.amdhsa_user_sgpr_kernarg_segment_ptr 1
		.amdhsa_user_sgpr_dispatch_id 0
		.amdhsa_user_sgpr_private_segment_size 0
		.amdhsa_wavefront_size32 1
		.amdhsa_uses_dynamic_stack 0
		.amdhsa_enable_private_segment 0
		.amdhsa_system_sgpr_workgroup_id_x 1
		.amdhsa_system_sgpr_workgroup_id_y 1
		.amdhsa_system_sgpr_workgroup_id_z 0
		.amdhsa_system_sgpr_workgroup_info 0
		.amdhsa_system_vgpr_workitem_id 1
		.amdhsa_next_free_vgpr 16
		.amdhsa_next_free_sgpr 24
		.amdhsa_reserve_vcc 1
		.amdhsa_float_round_mode_32 0
		.amdhsa_float_round_mode_16_64 0
		.amdhsa_float_denorm_mode_32 3
		.amdhsa_float_denorm_mode_16_64 3
		.amdhsa_fp16_overflow 0
		.amdhsa_workgroup_processor_mode 1
		.amdhsa_memory_ordered 1
		.amdhsa_forward_progress 1
		.amdhsa_inst_pref_size 6
		.amdhsa_round_robin_scheduling 0
		.amdhsa_exception_fp_ieee_invalid_op 0
		.amdhsa_exception_fp_denorm_src 0
		.amdhsa_exception_fp_ieee_div_zero 0
		.amdhsa_exception_fp_ieee_overflow 0
		.amdhsa_exception_fp_ieee_underflow 0
		.amdhsa_exception_fp_ieee_inexact 0
		.amdhsa_exception_int_div_zero 0
	.end_amdhsa_kernel
	.text
.Lfunc_end0:
	.size	_Z6conv2dPhS_Pfiiiii, .Lfunc_end0-_Z6conv2dPhS_Pfiiiii
                                        ; -- End function
	.set _Z6conv2dPhS_Pfiiiii.num_vgpr, 16
	.set _Z6conv2dPhS_Pfiiiii.num_agpr, 0
	.set _Z6conv2dPhS_Pfiiiii.numbered_sgpr, 24
	.set _Z6conv2dPhS_Pfiiiii.num_named_barrier, 0
	.set _Z6conv2dPhS_Pfiiiii.private_seg_size, 0
	.set _Z6conv2dPhS_Pfiiiii.uses_vcc, 1
	.set _Z6conv2dPhS_Pfiiiii.uses_flat_scratch, 0
	.set _Z6conv2dPhS_Pfiiiii.has_dyn_sized_stack, 0
	.set _Z6conv2dPhS_Pfiiiii.has_recursion, 0
	.set _Z6conv2dPhS_Pfiiiii.has_indirect_call, 0
	.section	.AMDGPU.csdata,"",@progbits
; Kernel info:
; codeLenInByte = 752
; TotalNumSgprs: 26
; NumVgprs: 16
; ScratchSize: 0
; MemoryBound: 0
; FloatMode: 240
; IeeeMode: 1
; LDSByteSize: 0 bytes/workgroup (compile time only)
; SGPRBlocks: 0
; VGPRBlocks: 1
; NumSGPRsForWavesPerEU: 26
; NumVGPRsForWavesPerEU: 16
; Occupancy: 16
; WaveLimiterHint : 0
; COMPUTE_PGM_RSRC2:SCRATCH_EN: 0
; COMPUTE_PGM_RSRC2:USER_SGPR: 2
; COMPUTE_PGM_RSRC2:TRAP_HANDLER: 0
; COMPUTE_PGM_RSRC2:TGID_X_EN: 1
; COMPUTE_PGM_RSRC2:TGID_Y_EN: 1
; COMPUTE_PGM_RSRC2:TGID_Z_EN: 0
; COMPUTE_PGM_RSRC2:TIDIG_COMP_CNT: 1
	.text
	.p2alignl 7, 3214868480
	.fill 96, 4, 3214868480
	.section	.AMDGPU.gpr_maximums,"",@progbits
	.set amdgpu.max_num_vgpr, 0
	.set amdgpu.max_num_agpr, 0
	.set amdgpu.max_num_sgpr, 0
	.text
	.type	__hip_cuid_c4b8513c2e2c8a77,@object ; @__hip_cuid_c4b8513c2e2c8a77
	.section	.bss,"aw",@nobits
	.globl	__hip_cuid_c4b8513c2e2c8a77
__hip_cuid_c4b8513c2e2c8a77:
	.byte	0                               ; 0x0
	.size	__hip_cuid_c4b8513c2e2c8a77, 1

	.ident	"AMD clang version 22.0.0git (https://github.com/RadeonOpenCompute/llvm-project roc-7.2.4 26084 f58b06dce1f9c15707c5f808fd002e18c2accf7e)"
	.section	".note.GNU-stack","",@progbits
	.addrsig
	.addrsig_sym __hip_cuid_c4b8513c2e2c8a77
	.amdgpu_metadata
---
amdhsa.kernels:
  - .args:
      - .address_space:  global
        .offset:         0
        .size:           8
        .value_kind:     global_buffer
      - .address_space:  global
        .offset:         8
        .size:           8
        .value_kind:     global_buffer
      - .address_space:  global
        .offset:         16
        .size:           8
        .value_kind:     global_buffer
      - .offset:         24
        .size:           4
        .value_kind:     by_value
      - .offset:         28
        .size:           4
        .value_kind:     by_value
      - .offset:         32
        .size:           4
        .value_kind:     by_value
      - .offset:         36
        .size:           4
        .value_kind:     by_value
      - .offset:         40
        .size:           4
        .value_kind:     by_value
      - .offset:         48
        .size:           4
        .value_kind:     hidden_block_count_x
      - .offset:         52
        .size:           4
        .value_kind:     hidden_block_count_y
      - .offset:         56
        .size:           4
        .value_kind:     hidden_block_count_z
      - .offset:         60
        .size:           2
        .value_kind:     hidden_group_size_x
      - .offset:         62
        .size:           2
        .value_kind:     hidden_group_size_y
      - .offset:         64
        .size:           2
        .value_kind:     hidden_group_size_z
      - .offset:         66
        .size:           2
        .value_kind:     hidden_remainder_x
      - .offset:         68
        .size:           2
        .value_kind:     hidden_remainder_y
      - .offset:         70
        .size:           2
        .value_kind:     hidden_remainder_z
      - .offset:         88
        .size:           8
        .value_kind:     hidden_global_offset_x
      - .offset:         96
        .size:           8
        .value_kind:     hidden_global_offset_y
      - .offset:         104
        .size:           8
        .value_kind:     hidden_global_offset_z
      - .offset:         112
        .size:           2
        .value_kind:     hidden_grid_dims
    .group_segment_fixed_size: 0
    .kernarg_segment_align: 8
    .kernarg_segment_size: 304
    .language:       OpenCL C
    .language_version:
      - 2
      - 0
    .max_flat_workgroup_size: 1024
    .name:           _Z6conv2dPhS_Pfiiiii
    .private_segment_fixed_size: 0
    .sgpr_count:     26
    .sgpr_spill_count: 0
    .symbol:         _Z6conv2dPhS_Pfiiiii.kd
    .uniform_work_group_size: 1
    .uses_dynamic_stack: false
    .vgpr_count:     16
    .vgpr_spill_count: 0
    .wavefront_size: 32
    .workgroup_processor_mode: 1
amdhsa.target:   amdgcn-amd-amdhsa--gfx1201
amdhsa.version:
  - 1
  - 2
...

	.end_amdgpu_metadata
